;; amdgpu-corpus repo=ROCm/rocFFT kind=compiled arch=gfx906 opt=O3
	.text
	.amdgcn_target "amdgcn-amd-amdhsa--gfx906"
	.amdhsa_code_object_version 6
	.protected	fft_rtc_back_len112_factors_16_7_wgs_256_tpt_16_sp_ip_CI_unitstride_sbrr_R2C_dirReg ; -- Begin function fft_rtc_back_len112_factors_16_7_wgs_256_tpt_16_sp_ip_CI_unitstride_sbrr_R2C_dirReg
	.globl	fft_rtc_back_len112_factors_16_7_wgs_256_tpt_16_sp_ip_CI_unitstride_sbrr_R2C_dirReg
	.p2align	8
	.type	fft_rtc_back_len112_factors_16_7_wgs_256_tpt_16_sp_ip_CI_unitstride_sbrr_R2C_dirReg,@function
fft_rtc_back_len112_factors_16_7_wgs_256_tpt_16_sp_ip_CI_unitstride_sbrr_R2C_dirReg: ; @fft_rtc_back_len112_factors_16_7_wgs_256_tpt_16_sp_ip_CI_unitstride_sbrr_R2C_dirReg
; %bb.0:
	s_load_dwordx2 s[2:3], s[4:5], 0x50
	s_load_dwordx4 s[8:11], s[4:5], 0x0
	s_load_dwordx2 s[12:13], s[4:5], 0x18
	v_lshrrev_b32_e32 v9, 4, v0
	v_mov_b32_e32 v3, 0
	v_mov_b32_e32 v1, 0
	s_waitcnt lgkmcnt(0)
	v_cmp_lt_u64_e64 s[0:1], s[10:11], 2
	v_lshl_or_b32 v5, s6, 4, v9
	v_mov_b32_e32 v6, v3
	s_and_b64 vcc, exec, s[0:1]
	v_mov_b32_e32 v2, 0
	s_cbranch_vccnz .LBB0_8
; %bb.1:
	s_load_dwordx2 s[0:1], s[4:5], 0x10
	s_add_u32 s6, s12, 8
	s_addc_u32 s7, s13, 0
	v_mov_b32_e32 v1, 0
	v_mov_b32_e32 v2, 0
	s_waitcnt lgkmcnt(0)
	s_add_u32 s14, s0, 8
	s_addc_u32 s15, s1, 0
	s_mov_b64 s[16:17], 1
.LBB0_2:                                ; =>This Inner Loop Header: Depth=1
	s_load_dwordx2 s[18:19], s[14:15], 0x0
                                        ; implicit-def: $vgpr7_vgpr8
	s_waitcnt lgkmcnt(0)
	v_or_b32_e32 v4, s19, v6
	v_cmp_ne_u64_e32 vcc, 0, v[3:4]
	s_and_saveexec_b64 s[0:1], vcc
	s_xor_b64 s[20:21], exec, s[0:1]
	s_cbranch_execz .LBB0_4
; %bb.3:                                ;   in Loop: Header=BB0_2 Depth=1
	v_cvt_f32_u32_e32 v4, s18
	v_cvt_f32_u32_e32 v7, s19
	s_sub_u32 s0, 0, s18
	s_subb_u32 s1, 0, s19
	v_mac_f32_e32 v4, 0x4f800000, v7
	v_rcp_f32_e32 v4, v4
	v_mul_f32_e32 v4, 0x5f7ffffc, v4
	v_mul_f32_e32 v7, 0x2f800000, v4
	v_trunc_f32_e32 v7, v7
	v_mac_f32_e32 v4, 0xcf800000, v7
	v_cvt_u32_f32_e32 v7, v7
	v_cvt_u32_f32_e32 v4, v4
	v_mul_lo_u32 v8, s0, v7
	v_mul_hi_u32 v10, s0, v4
	v_mul_lo_u32 v12, s1, v4
	v_mul_lo_u32 v11, s0, v4
	v_add_u32_e32 v8, v10, v8
	v_add_u32_e32 v8, v8, v12
	v_mul_hi_u32 v10, v4, v11
	v_mul_lo_u32 v12, v4, v8
	v_mul_hi_u32 v14, v4, v8
	v_mul_hi_u32 v13, v7, v11
	v_mul_lo_u32 v11, v7, v11
	v_mul_hi_u32 v15, v7, v8
	v_add_co_u32_e32 v10, vcc, v10, v12
	v_addc_co_u32_e32 v12, vcc, 0, v14, vcc
	v_mul_lo_u32 v8, v7, v8
	v_add_co_u32_e32 v10, vcc, v10, v11
	v_addc_co_u32_e32 v10, vcc, v12, v13, vcc
	v_addc_co_u32_e32 v11, vcc, 0, v15, vcc
	v_add_co_u32_e32 v8, vcc, v10, v8
	v_addc_co_u32_e32 v10, vcc, 0, v11, vcc
	v_add_co_u32_e32 v4, vcc, v4, v8
	v_addc_co_u32_e32 v7, vcc, v7, v10, vcc
	v_mul_lo_u32 v8, s0, v7
	v_mul_hi_u32 v10, s0, v4
	v_mul_lo_u32 v11, s1, v4
	v_mul_lo_u32 v12, s0, v4
	v_add_u32_e32 v8, v10, v8
	v_add_u32_e32 v8, v8, v11
	v_mul_lo_u32 v13, v4, v8
	v_mul_hi_u32 v14, v4, v12
	v_mul_hi_u32 v15, v4, v8
	;; [unrolled: 1-line block ×3, first 2 shown]
	v_mul_lo_u32 v12, v7, v12
	v_mul_hi_u32 v10, v7, v8
	v_add_co_u32_e32 v13, vcc, v14, v13
	v_addc_co_u32_e32 v14, vcc, 0, v15, vcc
	v_mul_lo_u32 v8, v7, v8
	v_add_co_u32_e32 v12, vcc, v13, v12
	v_addc_co_u32_e32 v11, vcc, v14, v11, vcc
	v_addc_co_u32_e32 v10, vcc, 0, v10, vcc
	v_add_co_u32_e32 v8, vcc, v11, v8
	v_addc_co_u32_e32 v10, vcc, 0, v10, vcc
	v_add_co_u32_e32 v4, vcc, v4, v8
	v_addc_co_u32_e32 v10, vcc, v7, v10, vcc
	v_mad_u64_u32 v[7:8], s[0:1], v5, v10, 0
	v_mul_hi_u32 v11, v5, v4
	v_add_co_u32_e32 v12, vcc, v11, v7
	v_addc_co_u32_e32 v13, vcc, 0, v8, vcc
	v_mad_u64_u32 v[7:8], s[0:1], v6, v4, 0
	v_mad_u64_u32 v[10:11], s[0:1], v6, v10, 0
	v_add_co_u32_e32 v4, vcc, v12, v7
	v_addc_co_u32_e32 v4, vcc, v13, v8, vcc
	v_addc_co_u32_e32 v7, vcc, 0, v11, vcc
	v_add_co_u32_e32 v4, vcc, v4, v10
	v_addc_co_u32_e32 v10, vcc, 0, v7, vcc
	v_mul_lo_u32 v11, s19, v4
	v_mul_lo_u32 v12, s18, v10
	v_mad_u64_u32 v[7:8], s[0:1], s18, v4, 0
	v_add3_u32 v8, v8, v12, v11
	v_sub_u32_e32 v11, v6, v8
	v_mov_b32_e32 v12, s19
	v_sub_co_u32_e32 v7, vcc, v5, v7
	v_subb_co_u32_e64 v11, s[0:1], v11, v12, vcc
	v_subrev_co_u32_e64 v12, s[0:1], s18, v7
	v_subbrev_co_u32_e64 v11, s[0:1], 0, v11, s[0:1]
	v_cmp_le_u32_e64 s[0:1], s19, v11
	v_cndmask_b32_e64 v13, 0, -1, s[0:1]
	v_cmp_le_u32_e64 s[0:1], s18, v12
	v_cndmask_b32_e64 v12, 0, -1, s[0:1]
	v_cmp_eq_u32_e64 s[0:1], s19, v11
	v_cndmask_b32_e64 v11, v13, v12, s[0:1]
	v_add_co_u32_e64 v12, s[0:1], 2, v4
	v_addc_co_u32_e64 v13, s[0:1], 0, v10, s[0:1]
	v_add_co_u32_e64 v14, s[0:1], 1, v4
	v_addc_co_u32_e64 v15, s[0:1], 0, v10, s[0:1]
	v_subb_co_u32_e32 v8, vcc, v6, v8, vcc
	v_cmp_ne_u32_e64 s[0:1], 0, v11
	v_cmp_le_u32_e32 vcc, s19, v8
	v_cndmask_b32_e64 v11, v15, v13, s[0:1]
	v_cndmask_b32_e64 v13, 0, -1, vcc
	v_cmp_le_u32_e32 vcc, s18, v7
	v_cndmask_b32_e64 v7, 0, -1, vcc
	v_cmp_eq_u32_e32 vcc, s19, v8
	v_cndmask_b32_e32 v7, v13, v7, vcc
	v_cmp_ne_u32_e32 vcc, 0, v7
	v_cndmask_b32_e64 v7, v14, v12, s[0:1]
	v_cndmask_b32_e32 v8, v10, v11, vcc
	v_cndmask_b32_e32 v7, v4, v7, vcc
.LBB0_4:                                ;   in Loop: Header=BB0_2 Depth=1
	s_andn2_saveexec_b64 s[0:1], s[20:21]
	s_cbranch_execz .LBB0_6
; %bb.5:                                ;   in Loop: Header=BB0_2 Depth=1
	v_cvt_f32_u32_e32 v4, s18
	s_sub_i32 s20, 0, s18
	v_rcp_iflag_f32_e32 v4, v4
	v_mul_f32_e32 v4, 0x4f7ffffe, v4
	v_cvt_u32_f32_e32 v4, v4
	v_mul_lo_u32 v7, s20, v4
	v_mul_hi_u32 v7, v4, v7
	v_add_u32_e32 v4, v4, v7
	v_mul_hi_u32 v4, v5, v4
	v_mul_lo_u32 v7, v4, s18
	v_add_u32_e32 v8, 1, v4
	v_sub_u32_e32 v7, v5, v7
	v_subrev_u32_e32 v10, s18, v7
	v_cmp_le_u32_e32 vcc, s18, v7
	v_cndmask_b32_e32 v7, v7, v10, vcc
	v_cndmask_b32_e32 v4, v4, v8, vcc
	v_add_u32_e32 v8, 1, v4
	v_cmp_le_u32_e32 vcc, s18, v7
	v_cndmask_b32_e32 v7, v4, v8, vcc
	v_mov_b32_e32 v8, v3
.LBB0_6:                                ;   in Loop: Header=BB0_2 Depth=1
	s_or_b64 exec, exec, s[0:1]
	v_mul_lo_u32 v4, v8, s18
	v_mul_lo_u32 v12, v7, s19
	v_mad_u64_u32 v[10:11], s[0:1], v7, s18, 0
	s_load_dwordx2 s[0:1], s[6:7], 0x0
	s_add_u32 s16, s16, 1
	v_add3_u32 v4, v11, v12, v4
	v_sub_co_u32_e32 v5, vcc, v5, v10
	v_subb_co_u32_e32 v4, vcc, v6, v4, vcc
	s_waitcnt lgkmcnt(0)
	v_mul_lo_u32 v4, s0, v4
	v_mul_lo_u32 v6, s1, v5
	v_mad_u64_u32 v[1:2], s[0:1], s0, v5, v[1:2]
	s_addc_u32 s17, s17, 0
	s_add_u32 s6, s6, 8
	v_add3_u32 v2, v6, v2, v4
	v_mov_b32_e32 v4, s10
	v_mov_b32_e32 v5, s11
	s_addc_u32 s7, s7, 0
	v_cmp_ge_u64_e32 vcc, s[16:17], v[4:5]
	s_add_u32 s14, s14, 8
	s_addc_u32 s15, s15, 0
	s_cbranch_vccnz .LBB0_9
; %bb.7:                                ;   in Loop: Header=BB0_2 Depth=1
	v_mov_b32_e32 v5, v7
	v_mov_b32_e32 v6, v8
	s_branch .LBB0_2
.LBB0_8:
	v_mov_b32_e32 v8, v6
	v_mov_b32_e32 v7, v5
.LBB0_9:
	s_lshl_b64 s[0:1], s[10:11], 3
	s_add_u32 s0, s12, s0
	s_addc_u32 s1, s13, s1
	s_load_dwordx2 s[6:7], s[0:1], 0x0
	s_load_dwordx2 s[10:11], s[4:5], 0x20
	v_mul_u32_u24_e32 v5, 0x71, v9
	v_and_b32_e32 v28, 15, v0
	v_lshlrev_b32_e32 v29, 3, v28
	s_waitcnt lgkmcnt(0)
	v_mul_lo_u32 v3, s6, v8
	v_mul_lo_u32 v4, s7, v7
	v_mad_u64_u32 v[1:2], s[0:1], s6, v7, v[1:2]
	v_cmp_gt_u64_e32 vcc, s[10:11], v[7:8]
	v_lshlrev_b32_e32 v39, 3, v5
	v_add3_u32 v2, v4, v2, v3
	v_lshlrev_b64 v[30:31], 3, v[1:2]
	s_and_saveexec_b64 s[4:5], vcc
	s_cbranch_execz .LBB0_11
; %bb.10:
	v_mov_b32_e32 v0, s3
	v_add_co_u32_e64 v1, s[0:1], s2, v30
	v_addc_co_u32_e64 v2, s[0:1], v0, v31, s[0:1]
	v_add_co_u32_e64 v0, s[0:1], v1, v29
	v_addc_co_u32_e64 v1, s[0:1], 0, v2, s[0:1]
	global_load_dwordx2 v[2:3], v[0:1], off
	global_load_dwordx2 v[4:5], v[0:1], off offset:128
	global_load_dwordx2 v[6:7], v[0:1], off offset:256
	;; [unrolled: 1-line block ×6, first 2 shown]
	v_add3_u32 v0, 0, v39, v29
	s_waitcnt vmcnt(5)
	ds_write2_b64 v0, v[2:3], v[4:5] offset1:16
	s_waitcnt vmcnt(3)
	ds_write2_b64 v0, v[6:7], v[8:9] offset0:32 offset1:48
	s_waitcnt vmcnt(1)
	ds_write2_b64 v0, v[10:11], v[12:13] offset0:64 offset1:80
	s_waitcnt vmcnt(0)
	ds_write_b64 v0, v[14:15] offset:768
.LBB0_11:
	s_or_b64 exec, exec, s[4:5]
	v_add_u32_e32 v37, 0, v39
	v_add3_u32 v38, 0, v29, v39
	s_waitcnt lgkmcnt(0)
	s_barrier
	v_add_u32_e32 v36, v37, v29
	ds_read2_b64 v[4:7], v38 offset0:7 offset1:14
	ds_read2_b64 v[0:3], v38 offset0:21 offset1:28
	ds_read_b64 v[32:33], v36
	ds_read_b64 v[34:35], v38 offset:840
	ds_read2_b64 v[8:11], v38 offset0:35 offset1:42
	ds_read2_b64 v[12:15], v38 offset0:49 offset1:56
	;; [unrolled: 1-line block ×5, first 2 shown]
	v_cmp_gt_u32_e64 s[0:1], 7, v28
	s_waitcnt lgkmcnt(0)
	s_barrier
	s_and_saveexec_b64 s[4:5], s[0:1]
	s_cbranch_execz .LBB0_13
; %bb.12:
	v_sub_f32_e32 v24, v8, v24
	v_sub_f32_e32 v25, v9, v25
	v_sub_f32_e32 v21, v5, v21
	v_sub_f32_e32 v20, v4, v20
	v_sub_f32_e32 v17, v1, v17
	v_sub_f32_e32 v16, v0, v16
	v_sub_f32_e32 v19, v3, v19
	v_sub_f32_e32 v34, v12, v34
	v_sub_f32_e32 v35, v13, v35
	v_fma_f32 v9, v9, 2.0, -v25
	v_fma_f32 v8, v8, 2.0, -v24
	v_sub_f32_e32 v24, v21, v24
	v_add_f32_e32 v25, v20, v25
	v_sub_f32_e32 v18, v2, v18
	v_sub_f32_e32 v14, v32, v14
	v_fma_f32 v12, v12, 2.0, -v34
	v_fma_f32 v13, v13, 2.0, -v35
	;; [unrolled: 1-line block ×4, first 2 shown]
	v_sub_f32_e32 v34, v17, v34
	v_add_f32_e32 v35, v16, v35
	v_fma_f32 v1, v21, 2.0, -v24
	v_fma_f32 v3, v20, 2.0, -v25
	v_sub_f32_e32 v26, v10, v26
	v_sub_f32_e32 v27, v11, v27
	;; [unrolled: 1-line block ×5, first 2 shown]
	v_fma_f32 v5, v5, 2.0, -v21
	v_fma_f32 v4, v4, 2.0, -v20
	v_fma_f32 v41, v0, 2.0, -v16
	v_fma_f32 v43, v2, 2.0, -v18
	v_fma_f32 v0, v17, 2.0, -v34
	v_fma_f32 v2, v16, 2.0, -v35
	v_mov_b32_e32 v21, v1
	v_mov_b32_e32 v20, v3
	v_add_f32_e32 v19, v14, v19
	v_fma_f32 v32, v32, 2.0, -v14
	v_fmac_f32_e32 v21, 0xbf3504f3, v0
	v_fmac_f32_e32 v20, 0xbf3504f3, v2
	v_sub_f32_e32 v16, v23, v26
	v_sub_f32_e32 v17, v15, v18
	v_add_f32_e32 v18, v22, v27
	v_fma_f32 v14, v14, 2.0, -v19
	v_fma_f32 v7, v7, 2.0, -v23
	;; [unrolled: 1-line block ×3, first 2 shown]
	v_fmac_f32_e32 v21, 0xbf3504f3, v2
	v_fmac_f32_e32 v20, 0x3f3504f3, v0
	v_fma_f32 v0, v23, 2.0, -v16
	v_fma_f32 v2, v22, 2.0, -v18
	;; [unrolled: 1-line block ×3, first 2 shown]
	v_mov_b32_e32 v23, v14
	v_fma_f32 v6, v6, 2.0, -v22
	v_mov_b32_e32 v22, v15
	v_fmac_f32_e32 v23, 0xbf3504f3, v2
	v_fmac_f32_e32 v22, 0xbf3504f3, v0
	;; [unrolled: 1-line block ×4, first 2 shown]
	v_fma_f32 v14, v14, 2.0, -v23
	v_fma_f32 v15, v15, 2.0, -v22
	;; [unrolled: 1-line block ×3, first 2 shown]
	v_mov_b32_e32 v0, v14
	v_fma_f32 v2, v1, 2.0, -v21
	v_mov_b32_e32 v1, v15
	v_fmac_f32_e32 v0, 0xbf6c835e, v3
	v_fma_f32 v10, v10, 2.0, -v26
	v_fma_f32 v11, v11, 2.0, -v27
	v_fmac_f32_e32 v1, 0xbf6c835e, v2
	v_fmac_f32_e32 v0, 0x3ec3ef15, v2
	;; [unrolled: 1-line block ×3, first 2 shown]
	v_fma_f32 v2, v14, 2.0, -v0
	v_sub_f32_e32 v14, v33, v40
	v_sub_f32_e32 v10, v6, v10
	;; [unrolled: 1-line block ×8, first 2 shown]
	v_fma_f32 v3, v15, 2.0, -v1
	v_fma_f32 v6, v6, 2.0, -v10
	;; [unrolled: 1-line block ×9, first 2 shown]
	v_sub_f32_e32 v40, v33, v7
	v_sub_f32_e32 v41, v4, v15
	;; [unrolled: 1-line block ×4, first 2 shown]
	v_fma_f32 v5, v5, 2.0, -v26
	v_fma_f32 v6, v33, 2.0, -v40
	;; [unrolled: 1-line block ×4, first 2 shown]
	v_sub_f32_e32 v5, v6, v5
	v_sub_f32_e32 v4, v15, v4
	v_fma_f32 v7, v6, 2.0, -v5
	v_fma_f32 v6, v15, 2.0, -v4
	v_lshlrev_b32_e32 v15, 7, v28
	v_add3_u32 v32, 0, v15, v39
	v_mov_b32_e32 v15, v17
	v_mov_b32_e32 v33, v19
	v_fmac_f32_e32 v15, 0x3f3504f3, v16
	v_fmac_f32_e32 v33, 0x3f3504f3, v18
	v_fmac_f32_e32 v33, 0x3f3504f3, v16
	v_fmac_f32_e32 v15, 0xbf3504f3, v18
	v_mov_b32_e32 v16, v24
	v_mov_b32_e32 v18, v25
	v_fmac_f32_e32 v16, 0x3f3504f3, v34
	v_fmac_f32_e32 v18, 0x3f3504f3, v35
	ds_write2_b64 v32, v[6:7], v[2:3] offset1:1
	v_fmac_f32_e32 v18, 0x3f3504f3, v34
	v_fmac_f32_e32 v16, 0xbf3504f3, v35
	v_fma_f32 v7, v17, 2.0, -v15
	v_fma_f32 v19, v19, 2.0, -v33
	v_fma_f32 v6, v24, 2.0, -v16
	v_fma_f32 v17, v25, 2.0, -v18
	v_mov_b32_e32 v3, v7
	v_mov_b32_e32 v2, v19
	v_fmac_f32_e32 v3, 0xbec3ef15, v6
	v_fmac_f32_e32 v2, 0xbec3ef15, v17
	;; [unrolled: 1-line block ×4, first 2 shown]
	v_sub_f32_e32 v17, v14, v10
	v_add_f32_e32 v25, v27, v11
	v_fma_f32 v6, v19, 2.0, -v2
	v_sub_f32_e32 v19, v9, v12
	v_add_f32_e32 v24, v8, v13
	v_fma_f32 v11, v14, 2.0, -v17
	v_fma_f32 v13, v27, 2.0, -v25
	;; [unrolled: 1-line block ×4, first 2 shown]
	v_mov_b32_e32 v9, v11
	v_mov_b32_e32 v8, v13
	v_fmac_f32_e32 v9, 0xbf3504f3, v10
	v_fmac_f32_e32 v8, 0xbf3504f3, v12
	;; [unrolled: 1-line block ×4, first 2 shown]
	v_fma_f32 v7, v7, 2.0, -v3
	v_fma_f32 v11, v11, 2.0, -v9
	;; [unrolled: 1-line block ×3, first 2 shown]
	ds_write2_b64 v32, v[10:11], v[6:7] offset0:2 offset1:3
	v_mov_b32_e32 v7, v15
	v_mov_b32_e32 v13, v17
	v_fmac_f32_e32 v7, 0x3f6c835e, v16
	v_mov_b32_e32 v6, v33
	v_fmac_f32_e32 v13, 0x3f3504f3, v19
	v_fmac_f32_e32 v6, 0x3f6c835e, v18
	;; [unrolled: 1-line block ×5, first 2 shown]
	v_fma_f32 v11, v15, 2.0, -v7
	v_fma_f32 v15, v17, 2.0, -v13
	v_mov_b32_e32 v17, v22
	v_mov_b32_e32 v16, v23
	;; [unrolled: 1-line block ×3, first 2 shown]
	v_fmac_f32_e32 v17, 0x3ec3ef15, v21
	v_fmac_f32_e32 v16, 0x3ec3ef15, v20
	;; [unrolled: 1-line block ×5, first 2 shown]
	v_add_f32_e32 v20, v42, v26
	v_sub_f32_e32 v21, v40, v41
	v_fmac_f32_e32 v12, 0x3f3504f3, v19
	v_fma_f32 v19, v22, 2.0, -v17
	v_fma_f32 v18, v23, 2.0, -v16
	;; [unrolled: 1-line block ×6, first 2 shown]
	ds_write2_b64 v32, v[22:23], v[18:19] offset0:4 offset1:5
	ds_write2_b64 v32, v[14:15], v[10:11] offset0:6 offset1:7
	;; [unrolled: 1-line block ×6, first 2 shown]
.LBB0_13:
	s_or_b64 exec, exec, s[4:5]
	v_mul_u32_u24_e32 v0, 6, v28
	v_lshlrev_b32_e32 v12, 3, v0
	s_waitcnt lgkmcnt(0)
	s_barrier
	global_load_dwordx4 v[0:3], v12, s[8:9]
	global_load_dwordx4 v[4:7], v12, s[8:9] offset:16
	global_load_dwordx4 v[8:11], v12, s[8:9] offset:32
	ds_read_b64 v[24:25], v36
	ds_read2_b64 v[12:15], v38 offset0:16 offset1:32
	ds_read2_b64 v[16:19], v38 offset0:48 offset1:64
	;; [unrolled: 1-line block ×3, first 2 shown]
	s_mov_b32 s0, 0xbf5ff5aa
	s_mov_b32 s1, 0x3f3bfb3b
	;; [unrolled: 1-line block ×3, first 2 shown]
	s_waitcnt vmcnt(0) lgkmcnt(0)
	s_barrier
	v_mul_f32_e32 v26, v1, v13
	v_mul_f32_e32 v1, v1, v12
	;; [unrolled: 1-line block ×12, first 2 shown]
	v_fmac_f32_e32 v26, v0, v12
	v_fma_f32 v0, v0, v13, -v1
	v_fmac_f32_e32 v27, v2, v14
	v_fma_f32 v1, v2, v15, -v3
	v_fmac_f32_e32 v32, v4, v16
	v_fma_f32 v2, v4, v17, -v5
	v_fmac_f32_e32 v34, v8, v20
	v_fma_f32 v4, v8, v21, -v9
	v_fmac_f32_e32 v35, v10, v22
	v_fma_f32 v5, v10, v23, -v11
	v_fmac_f32_e32 v33, v6, v18
	v_fma_f32 v3, v6, v19, -v7
	v_add_f32_e32 v6, v26, v35
	v_add_f32_e32 v7, v0, v5
	v_sub_f32_e32 v0, v0, v5
	v_add_f32_e32 v5, v27, v34
	v_add_f32_e32 v9, v1, v4
	v_sub_f32_e32 v10, v27, v34
	v_sub_f32_e32 v1, v1, v4
	v_add_f32_e32 v4, v32, v33
	v_add_f32_e32 v11, v2, v3
	v_sub_f32_e32 v12, v33, v32
	;; [unrolled: 4-line block ×3, first 2 shown]
	v_sub_f32_e32 v14, v5, v6
	v_sub_f32_e32 v15, v9, v7
	;; [unrolled: 1-line block ×6, first 2 shown]
	v_add_f32_e32 v16, v12, v10
	v_add_f32_e32 v17, v2, v1
	v_sub_f32_e32 v18, v12, v10
	v_sub_f32_e32 v19, v2, v1
	v_add_f32_e32 v3, v4, v3
	v_add_f32_e32 v4, v11, v13
	v_sub_f32_e32 v12, v8, v12
	v_sub_f32_e32 v2, v0, v2
	v_sub_f32_e32 v10, v10, v8
	v_sub_f32_e32 v20, v1, v0
	v_add_f32_e32 v8, v16, v8
	v_add_f32_e32 v11, v17, v0
	v_mul_f32_e32 v6, 0x3f4a47b2, v6
	v_mul_f32_e32 v7, 0x3f4a47b2, v7
	v_mul_f32_e32 v13, 0x3d64c772, v5
	v_mul_f32_e32 v16, 0x3d64c772, v9
	v_mul_f32_e32 v17, 0x3f08b237, v18
	v_mul_f32_e32 v18, 0x3f08b237, v19
	v_add_f32_e32 v0, v3, v24
	v_add_f32_e32 v1, v4, v25
	v_mul_f32_e32 v19, 0xbf5ff5aa, v10
	v_mul_f32_e32 v21, 0xbf5ff5aa, v20
	v_fma_f32 v13, v14, s1, -v13
	v_fma_f32 v16, v15, s1, -v16
	;; [unrolled: 1-line block ×3, first 2 shown]
	v_fmac_f32_e32 v6, 0x3d64c772, v5
	v_fma_f32 v5, v15, s4, -v7
	v_mov_b32_e32 v15, v0
	v_mov_b32_e32 v22, v1
	v_fmac_f32_e32 v7, 0x3d64c772, v9
	v_fma_f32 v9, v10, s0, -v17
	v_fma_f32 v10, v20, s0, -v18
	s_mov_b32 s0, 0x3eae86e6
	v_fmac_f32_e32 v15, 0xbf955555, v3
	v_fmac_f32_e32 v22, 0xbf955555, v4
	;; [unrolled: 1-line block ×4, first 2 shown]
	v_fma_f32 v12, v12, s0, -v19
	v_fma_f32 v19, v2, s0, -v21
	v_add_f32_e32 v20, v6, v15
	v_add_f32_e32 v21, v7, v22
	;; [unrolled: 1-line block ×5, first 2 shown]
	v_fmac_f32_e32 v17, 0xbee1c552, v8
	v_fmac_f32_e32 v18, 0xbee1c552, v11
	;; [unrolled: 1-line block ×4, first 2 shown]
	v_add_f32_e32 v16, v16, v22
	v_fmac_f32_e32 v9, 0xbee1c552, v8
	v_fmac_f32_e32 v10, 0xbee1c552, v11
	v_add_f32_e32 v2, v18, v20
	v_sub_f32_e32 v3, v21, v17
	v_add_f32_e32 v4, v19, v14
	v_sub_f32_e32 v5, v15, v12
	v_sub_f32_e32 v6, v13, v10
	v_add_f32_e32 v7, v9, v16
	v_add_f32_e32 v8, v10, v13
	v_sub_f32_e32 v9, v16, v9
	v_sub_f32_e32 v10, v14, v19
	v_add_f32_e32 v11, v12, v15
	v_sub_f32_e32 v12, v20, v18
	v_add_f32_e32 v13, v17, v21
	ds_write2_b64 v38, v[0:1], v[2:3] offset1:16
	ds_write2_b64 v38, v[4:5], v[6:7] offset0:32 offset1:48
	ds_write2_b64 v38, v[8:9], v[10:11] offset0:64 offset1:80
	ds_write_b64 v38, v[12:13] offset:768
	s_waitcnt lgkmcnt(0)
	s_barrier
	ds_read_b64 v[4:5], v36
	v_sub_u32_e32 v6, v37, v29
	v_cmp_ne_u32_e64 s[0:1], 0, v28
                                        ; implicit-def: $vgpr3
                                        ; implicit-def: $vgpr7
                                        ; implicit-def: $vgpr0_vgpr1
	s_and_saveexec_b64 s[4:5], s[0:1]
	s_xor_b64 s[0:1], exec, s[4:5]
	s_cbranch_execz .LBB0_15
; %bb.14:
	global_load_dwordx2 v[0:1], v29, s[8:9] offset:768
	ds_read_b64 v[2:3], v6 offset:896
	v_mov_b32_e32 v29, 0
                                        ; implicit-def: $vgpr37
	s_waitcnt lgkmcnt(0)
	v_add_f32_e32 v8, v2, v4
	v_sub_f32_e32 v2, v4, v2
	v_add_f32_e32 v7, v3, v5
	v_sub_f32_e32 v3, v5, v3
	v_mul_f32_e32 v2, 0.5, v2
	v_mul_f32_e32 v4, 0.5, v7
	;; [unrolled: 1-line block ×3, first 2 shown]
	s_waitcnt vmcnt(0)
	v_mul_f32_e32 v5, v1, v2
	v_fma_f32 v7, v4, v1, v3
	v_fma_f32 v1, v4, v1, -v3
	v_fma_f32 v9, 0.5, v8, v5
	v_fma_f32 v5, v8, 0.5, -v5
	v_fma_f32 v7, -v0, v2, v7
	v_fma_f32 v3, -v0, v2, v1
	v_fmac_f32_e32 v9, v0, v4
	v_fma_f32 v2, -v0, v4, v5
	v_mov_b32_e32 v0, v28
	ds_write_b32 v36, v9
	v_mov_b32_e32 v1, v29
                                        ; implicit-def: $vgpr4_vgpr5
.LBB0_15:
	s_andn2_saveexec_b64 s[0:1], s[0:1]
	s_cbranch_execz .LBB0_17
; %bb.16:
	ds_read_b32 v3, v37 offset:452
	s_waitcnt lgkmcnt(1)
	v_add_f32_e32 v7, v4, v5
	v_mov_b32_e32 v0, 0
	ds_write_b32 v36, v7
	v_mov_b32_e32 v7, 0
	s_waitcnt lgkmcnt(1)
	v_xor_b32_e32 v3, 0x80000000, v3
	v_sub_f32_e32 v2, v4, v5
	v_mov_b32_e32 v1, 0
	ds_write_b32 v37, v3 offset:452
	v_mov_b32_e32 v3, v7
.LBB0_17:
	s_or_b64 exec, exec, s[0:1]
	s_add_u32 s0, s8, 0x300
	v_lshlrev_b64 v[0:1], 3, v[0:1]
	s_addc_u32 s1, s9, 0
	s_waitcnt lgkmcnt(0)
	v_mov_b32_e32 v5, s1
	v_add_co_u32_e64 v4, s[0:1], s0, v0
	v_addc_co_u32_e64 v5, s[0:1], v5, v1, s[0:1]
	global_load_dwordx2 v[8:9], v[4:5], off offset:128
	global_load_dwordx2 v[10:11], v[4:5], off offset:256
	ds_write_b32 v36, v7 offset:4
	ds_write_b64 v6, v[2:3] offset:896
	ds_read_b64 v[2:3], v36 offset:128
	ds_read_b64 v[12:13], v6 offset:768
	s_waitcnt lgkmcnt(0)
	v_add_f32_e32 v7, v2, v12
	v_sub_f32_e32 v2, v2, v12
	v_add_f32_e32 v14, v3, v13
	v_sub_f32_e32 v3, v3, v13
	v_mul_f32_e32 v13, 0.5, v2
	v_mul_f32_e32 v12, 0.5, v14
	;; [unrolled: 1-line block ×3, first 2 shown]
	s_waitcnt vmcnt(1)
	v_mul_f32_e32 v14, v9, v13
	v_fma_f32 v3, v12, v9, v2
	v_fma_f32 v9, v12, v9, -v2
	v_fma_f32 v2, 0.5, v7, v14
	v_fma_f32 v3, -v8, v13, v3
	v_fma_f32 v7, v7, 0.5, -v14
	v_fmac_f32_e32 v2, v8, v12
	v_fma_f32 v9, -v8, v13, v9
	v_fma_f32 v8, -v8, v12, v7
	ds_write_b64 v36, v[2:3] offset:128
	ds_write_b64 v6, v[8:9] offset:768
	ds_read_b64 v[2:3], v36 offset:256
	ds_read_b64 v[7:8], v6 offset:640
	v_or_b32_e32 v9, 48, v28
	v_cmp_gt_u32_e64 s[0:1], 56, v9
	s_waitcnt lgkmcnt(0)
	v_add_f32_e32 v12, v2, v7
	v_sub_f32_e32 v2, v2, v7
	v_add_f32_e32 v13, v3, v8
	v_sub_f32_e32 v3, v3, v8
	v_mul_f32_e32 v8, 0.5, v2
	v_mul_f32_e32 v7, 0.5, v13
	;; [unrolled: 1-line block ×3, first 2 shown]
	s_waitcnt vmcnt(0)
	v_mul_f32_e32 v13, v11, v8
	v_fma_f32 v3, v7, v11, v2
	v_fma_f32 v11, v7, v11, -v2
	v_fma_f32 v2, 0.5, v12, v13
	v_fma_f32 v3, -v10, v8, v3
	v_fma_f32 v12, v12, 0.5, -v13
	v_fmac_f32_e32 v2, v10, v7
	v_fma_f32 v8, -v10, v8, v11
	v_fma_f32 v7, -v10, v7, v12
	ds_write_b64 v36, v[2:3] offset:256
	ds_write_b64 v6, v[7:8] offset:640
	s_and_saveexec_b64 s[4:5], s[0:1]
	s_cbranch_execz .LBB0_19
; %bb.18:
	global_load_dwordx2 v[2:3], v[4:5], off offset:384
	ds_read_b64 v[4:5], v36 offset:384
	ds_read_b64 v[7:8], v6 offset:512
	s_waitcnt lgkmcnt(0)
	v_add_f32_e32 v9, v4, v7
	v_sub_f32_e32 v4, v4, v7
	v_add_f32_e32 v10, v5, v8
	v_sub_f32_e32 v5, v5, v8
	v_mul_f32_e32 v8, 0.5, v4
	v_mul_f32_e32 v7, 0.5, v10
	;; [unrolled: 1-line block ×3, first 2 shown]
	s_waitcnt vmcnt(0)
	v_mul_f32_e32 v5, v3, v8
	v_fma_f32 v10, v7, v3, v4
	v_fma_f32 v11, v7, v3, -v4
	v_fma_f32 v3, 0.5, v9, v5
	v_fma_f32 v4, -v2, v8, v10
	v_fma_f32 v5, v9, 0.5, -v5
	v_fmac_f32_e32 v3, v2, v7
	v_fma_f32 v8, -v2, v8, v11
	v_fma_f32 v7, -v2, v7, v5
	ds_write_b64 v36, v[3:4] offset:384
	ds_write_b64 v6, v[7:8] offset:512
.LBB0_19:
	s_or_b64 exec, exec, s[4:5]
	s_waitcnt lgkmcnt(0)
	s_barrier
	s_and_saveexec_b64 s[0:1], vcc
	s_cbranch_execz .LBB0_22
; %bb.20:
	ds_read2_b64 v[4:7], v36 offset1:16
	v_mov_b32_e32 v3, s3
	v_add_co_u32_e32 v2, vcc, s2, v30
	ds_read2_b64 v[8:11], v36 offset0:32 offset1:48
	v_addc_co_u32_e32 v3, vcc, v3, v31, vcc
	v_add_co_u32_e32 v0, vcc, v2, v0
	ds_read2_b64 v[12:15], v36 offset0:64 offset1:80
	v_addc_co_u32_e32 v1, vcc, v3, v1, vcc
	s_waitcnt lgkmcnt(2)
	global_store_dwordx2 v[0:1], v[4:5], off
	ds_read_b64 v[4:5], v36 offset:768
	v_cmp_eq_u32_e32 vcc, 15, v28
	global_store_dwordx2 v[0:1], v[6:7], off offset:128
	s_waitcnt lgkmcnt(2)
	global_store_dwordx2 v[0:1], v[8:9], off offset:256
	global_store_dwordx2 v[0:1], v[10:11], off offset:384
	s_waitcnt lgkmcnt(1)
	global_store_dwordx2 v[0:1], v[12:13], off offset:512
	;; [unrolled: 3-line block ×3, first 2 shown]
	s_and_b64 exec, exec, vcc
	s_cbranch_execz .LBB0_22
; %bb.21:
	ds_read_b64 v[0:1], v36 offset:776
	s_waitcnt lgkmcnt(0)
	global_store_dwordx2 v[2:3], v[0:1], off offset:896
.LBB0_22:
	s_endpgm
	.section	.rodata,"a",@progbits
	.p2align	6, 0x0
	.amdhsa_kernel fft_rtc_back_len112_factors_16_7_wgs_256_tpt_16_sp_ip_CI_unitstride_sbrr_R2C_dirReg
		.amdhsa_group_segment_fixed_size 0
		.amdhsa_private_segment_fixed_size 0
		.amdhsa_kernarg_size 88
		.amdhsa_user_sgpr_count 6
		.amdhsa_user_sgpr_private_segment_buffer 1
		.amdhsa_user_sgpr_dispatch_ptr 0
		.amdhsa_user_sgpr_queue_ptr 0
		.amdhsa_user_sgpr_kernarg_segment_ptr 1
		.amdhsa_user_sgpr_dispatch_id 0
		.amdhsa_user_sgpr_flat_scratch_init 0
		.amdhsa_user_sgpr_private_segment_size 0
		.amdhsa_uses_dynamic_stack 0
		.amdhsa_system_sgpr_private_segment_wavefront_offset 0
		.amdhsa_system_sgpr_workgroup_id_x 1
		.amdhsa_system_sgpr_workgroup_id_y 0
		.amdhsa_system_sgpr_workgroup_id_z 0
		.amdhsa_system_sgpr_workgroup_info 0
		.amdhsa_system_vgpr_workitem_id 0
		.amdhsa_next_free_vgpr 44
		.amdhsa_next_free_sgpr 22
		.amdhsa_reserve_vcc 1
		.amdhsa_reserve_flat_scratch 0
		.amdhsa_float_round_mode_32 0
		.amdhsa_float_round_mode_16_64 0
		.amdhsa_float_denorm_mode_32 3
		.amdhsa_float_denorm_mode_16_64 3
		.amdhsa_dx10_clamp 1
		.amdhsa_ieee_mode 1
		.amdhsa_fp16_overflow 0
		.amdhsa_exception_fp_ieee_invalid_op 0
		.amdhsa_exception_fp_denorm_src 0
		.amdhsa_exception_fp_ieee_div_zero 0
		.amdhsa_exception_fp_ieee_overflow 0
		.amdhsa_exception_fp_ieee_underflow 0
		.amdhsa_exception_fp_ieee_inexact 0
		.amdhsa_exception_int_div_zero 0
	.end_amdhsa_kernel
	.text
.Lfunc_end0:
	.size	fft_rtc_back_len112_factors_16_7_wgs_256_tpt_16_sp_ip_CI_unitstride_sbrr_R2C_dirReg, .Lfunc_end0-fft_rtc_back_len112_factors_16_7_wgs_256_tpt_16_sp_ip_CI_unitstride_sbrr_R2C_dirReg
                                        ; -- End function
	.section	.AMDGPU.csdata,"",@progbits
; Kernel info:
; codeLenInByte = 4188
; NumSgprs: 26
; NumVgprs: 44
; ScratchSize: 0
; MemoryBound: 0
; FloatMode: 240
; IeeeMode: 1
; LDSByteSize: 0 bytes/workgroup (compile time only)
; SGPRBlocks: 3
; VGPRBlocks: 10
; NumSGPRsForWavesPerEU: 26
; NumVGPRsForWavesPerEU: 44
; Occupancy: 5
; WaveLimiterHint : 1
; COMPUTE_PGM_RSRC2:SCRATCH_EN: 0
; COMPUTE_PGM_RSRC2:USER_SGPR: 6
; COMPUTE_PGM_RSRC2:TRAP_HANDLER: 0
; COMPUTE_PGM_RSRC2:TGID_X_EN: 1
; COMPUTE_PGM_RSRC2:TGID_Y_EN: 0
; COMPUTE_PGM_RSRC2:TGID_Z_EN: 0
; COMPUTE_PGM_RSRC2:TIDIG_COMP_CNT: 0
	.type	__hip_cuid_4c443509059d5645,@object ; @__hip_cuid_4c443509059d5645
	.section	.bss,"aw",@nobits
	.globl	__hip_cuid_4c443509059d5645
__hip_cuid_4c443509059d5645:
	.byte	0                               ; 0x0
	.size	__hip_cuid_4c443509059d5645, 1

	.ident	"AMD clang version 19.0.0git (https://github.com/RadeonOpenCompute/llvm-project roc-6.4.0 25133 c7fe45cf4b819c5991fe208aaa96edf142730f1d)"
	.section	".note.GNU-stack","",@progbits
	.addrsig
	.addrsig_sym __hip_cuid_4c443509059d5645
	.amdgpu_metadata
---
amdhsa.kernels:
  - .args:
      - .actual_access:  read_only
        .address_space:  global
        .offset:         0
        .size:           8
        .value_kind:     global_buffer
      - .offset:         8
        .size:           8
        .value_kind:     by_value
      - .actual_access:  read_only
        .address_space:  global
        .offset:         16
        .size:           8
        .value_kind:     global_buffer
      - .actual_access:  read_only
        .address_space:  global
        .offset:         24
        .size:           8
        .value_kind:     global_buffer
      - .offset:         32
        .size:           8
        .value_kind:     by_value
      - .actual_access:  read_only
        .address_space:  global
        .offset:         40
        .size:           8
        .value_kind:     global_buffer
      - .actual_access:  read_only
        .address_space:  global
        .offset:         48
        .size:           8
        .value_kind:     global_buffer
      - .offset:         56
        .size:           4
        .value_kind:     by_value
      - .actual_access:  read_only
        .address_space:  global
        .offset:         64
        .size:           8
        .value_kind:     global_buffer
      - .actual_access:  read_only
        .address_space:  global
        .offset:         72
        .size:           8
        .value_kind:     global_buffer
      - .address_space:  global
        .offset:         80
        .size:           8
        .value_kind:     global_buffer
    .group_segment_fixed_size: 0
    .kernarg_segment_align: 8
    .kernarg_segment_size: 88
    .language:       OpenCL C
    .language_version:
      - 2
      - 0
    .max_flat_workgroup_size: 256
    .name:           fft_rtc_back_len112_factors_16_7_wgs_256_tpt_16_sp_ip_CI_unitstride_sbrr_R2C_dirReg
    .private_segment_fixed_size: 0
    .sgpr_count:     26
    .sgpr_spill_count: 0
    .symbol:         fft_rtc_back_len112_factors_16_7_wgs_256_tpt_16_sp_ip_CI_unitstride_sbrr_R2C_dirReg.kd
    .uniform_work_group_size: 1
    .uses_dynamic_stack: false
    .vgpr_count:     44
    .vgpr_spill_count: 0
    .wavefront_size: 64
amdhsa.target:   amdgcn-amd-amdhsa--gfx906
amdhsa.version:
  - 1
  - 2
...

	.end_amdgpu_metadata
